;; amdgpu-corpus repo=ROCm/rocFFT kind=compiled arch=gfx1201 opt=O3
	.text
	.amdgcn_target "amdgcn-amd-amdhsa--gfx1201"
	.amdhsa_code_object_version 6
	.protected	bluestein_single_back_len18_dim1_sp_op_CI_CI ; -- Begin function bluestein_single_back_len18_dim1_sp_op_CI_CI
	.globl	bluestein_single_back_len18_dim1_sp_op_CI_CI
	.p2align	8
	.type	bluestein_single_back_len18_dim1_sp_op_CI_CI,@function
bluestein_single_back_len18_dim1_sp_op_CI_CI: ; @bluestein_single_back_len18_dim1_sp_op_CI_CI
; %bb.0:
	s_load_b128 s[8:11], s[0:1], 0x28
	v_mul_u32_u24_e32 v1, 0x2aab, v0
	s_mov_b32 s2, exec_lo
	s_delay_alu instid0(VALU_DEP_1) | instskip(NEXT) | instid1(VALU_DEP_1)
	v_lshrrev_b32_e32 v1, 16, v1
	v_mad_co_u64_u32 v[20:21], null, ttmp9, 10, v[1:2]
	v_mov_b32_e32 v21, 0
	s_wait_kmcnt 0x0
	s_delay_alu instid0(VALU_DEP_1)
	v_cmpx_gt_u64_e64 s[8:9], v[20:21]
	s_cbranch_execz .LBB0_10
; %bb.1:
	s_load_b128 s[4:7], s[0:1], 0x18
	v_mul_lo_u16 v1, v1, 6
                                        ; implicit-def: $vgpr16
	s_delay_alu instid0(VALU_DEP_1) | instskip(NEXT) | instid1(VALU_DEP_1)
	v_sub_nc_u16 v10, v0, v1
	v_and_b32_e32 v31, 0xffff, v10
	s_delay_alu instid0(VALU_DEP_1)
	v_lshlrev_b32_e32 v33, 3, v31
	s_wait_kmcnt 0x0
	s_load_b128 s[12:15], s[4:5], 0x0
	s_wait_kmcnt 0x0
	v_mad_co_u64_u32 v[0:1], null, s14, v20, 0
	v_mad_co_u64_u32 v[2:3], null, s12, v31, 0
	s_mul_i32 s2, s13, 48
	s_delay_alu instid0(VALU_DEP_1) | instskip(NEXT) | instid1(VALU_DEP_1)
	v_mad_co_u64_u32 v[4:5], null, s15, v20, v[1:2]
	v_mad_co_u64_u32 v[5:6], null, s13, v31, v[3:4]
	v_mul_hi_u32 v6, 0xcccccccd, v20
	s_delay_alu instid0(VALU_DEP_2) | instskip(NEXT) | instid1(VALU_DEP_2)
	v_mov_b32_e32 v3, v5
	v_lshrrev_b32_e32 v6, 3, v6
	s_delay_alu instid0(VALU_DEP_2) | instskip(NEXT) | instid1(VALU_DEP_2)
	v_lshlrev_b64_e32 v[2:3], 3, v[2:3]
	v_mul_lo_u32 v6, v6, 10
	s_delay_alu instid0(VALU_DEP_1) | instskip(NEXT) | instid1(VALU_DEP_1)
	v_sub_nc_u32_e32 v6, v20, v6
	v_mul_u32_u24_e32 v6, 18, v6
	s_delay_alu instid0(VALU_DEP_1) | instskip(NEXT) | instid1(VALU_DEP_1)
	v_dual_mov_b32 v1, v4 :: v_dual_lshlrev_b32 v34, 3, v6
	v_lshlrev_b64_e32 v[0:1], 3, v[0:1]
	s_delay_alu instid0(VALU_DEP_1) | instskip(NEXT) | instid1(VALU_DEP_2)
	v_add_co_u32 v0, vcc_lo, s10, v0
	v_add_co_ci_u32_e32 v1, vcc_lo, s11, v1, vcc_lo
	s_load_b128 s[8:11], s[0:1], 0x0
	s_delay_alu instid0(VALU_DEP_2) | instskip(SKIP_1) | instid1(VALU_DEP_2)
	v_add_co_u32 v0, vcc_lo, v0, v2
	s_wait_alu 0xfffd
	v_add_co_ci_u32_e32 v1, vcc_lo, v1, v3, vcc_lo
	v_cmp_gt_u16_e32 vcc_lo, 3, v10
	s_delay_alu instid0(VALU_DEP_2) | instskip(NEXT) | instid1(VALU_DEP_1)
	v_mad_co_u64_u32 v[2:3], null, s12, 48, v[0:1]
	v_add_nc_u32_e32 v3, s2, v3
	s_delay_alu instid0(VALU_DEP_1) | instskip(NEXT) | instid1(VALU_DEP_1)
	v_mad_co_u64_u32 v[4:5], null, s12, 48, v[2:3]
	v_add_nc_u32_e32 v5, s2, v5
	s_load_b64 s[2:3], s[0:1], 0x38
	global_load_b64 v[0:1], v[0:1], off
	s_wait_kmcnt 0x0
	global_load_b64 v[21:22], v33, s[8:9]
	s_wait_loadcnt 0x0
	v_mul_f32_e32 v6, v1, v22
	global_load_b64 v[2:3], v[2:3], off
	s_clause 0x1
	global_load_b64 v[23:24], v33, s[8:9] offset:48
	global_load_b64 v[25:26], v33, s[8:9] offset:96
	global_load_b64 v[4:5], v[4:5], off
	v_mul_f32_e32 v7, v0, v22
	s_load_b128 s[4:7], s[6:7], 0x0
	v_fmac_f32_e32 v6, v0, v21
	s_delay_alu instid0(VALU_DEP_2)
	v_fma_f32 v7, v1, v21, -v7
	s_wait_loadcnt 0x2
	v_mul_f32_e32 v0, v3, v24
	v_dual_mul_f32 v9, v2, v24 :: v_dual_add_nc_u32 v32, v33, v34
	s_wait_loadcnt 0x0
	v_mul_f32_e32 v8, v5, v26
	s_delay_alu instid0(VALU_DEP_3) | instskip(SKIP_2) | instid1(VALU_DEP_4)
	v_dual_mul_f32 v11, v4, v26 :: v_dual_fmac_f32 v0, v2, v23
	v_add_co_u32 v29, s0, s8, v33
	v_fma_f32 v1, v3, v23, -v9
	v_fmac_f32_e32 v8, v4, v25
	s_delay_alu instid0(VALU_DEP_4)
	v_fma_f32 v9, v5, v25, -v11
	ds_store_2addr_b64 v32, v[6:7], v[0:1] offset1:6
	ds_store_b64 v32, v[8:9] offset:96
	global_wb scope:SCOPE_SE
	s_wait_dscnt 0x0
	s_wait_kmcnt 0x0
	s_barrier_signal -1
	s_barrier_wait -1
	global_inv scope:SCOPE_SE
	ds_load_2addr_b64 v[0:3], v32 offset1:6
	ds_load_b64 v[4:5], v32 offset:96
	v_mul_lo_u16 v6, v10, 3
	s_wait_alu 0xf1ff
	v_add_co_ci_u32_e64 v30, null, s9, 0, s0
	global_wb scope:SCOPE_SE
	s_wait_dscnt 0x0
	s_barrier_signal -1
	s_barrier_wait -1
	global_inv scope:SCOPE_SE
	v_add_f32_e32 v8, v3, v5
	v_sub_f32_e32 v11, v3, v5
	v_dual_add_f32 v3, v1, v3 :: v_dual_and_b32 v6, 0xffff, v6
	s_delay_alu instid0(VALU_DEP_3) | instskip(NEXT) | instid1(VALU_DEP_2)
	v_fma_f32 v13, -0.5, v8, v1
	v_add_f32_e32 v9, v3, v5
	s_delay_alu instid0(VALU_DEP_3) | instskip(SKIP_1) | instid1(VALU_DEP_1)
	v_lshl_add_u32 v35, v6, 3, v34
	v_add_f32_e32 v6, v2, v4
	v_fma_f32 v12, -0.5, v6, v0
	v_dual_add_f32 v7, v0, v2 :: v_dual_sub_f32 v0, v2, v4
	s_delay_alu instid0(VALU_DEP_2) | instskip(NEXT) | instid1(VALU_DEP_2)
	v_fmamk_f32 v10, v11, 0x3f5db3d7, v12
	v_add_f32_e32 v8, v7, v4
	s_delay_alu instid0(VALU_DEP_3)
	v_dual_fmac_f32 v12, 0xbf5db3d7, v11 :: v_dual_fmamk_f32 v11, v0, 0xbf5db3d7, v13
	v_fmac_f32_e32 v13, 0x3f5db3d7, v0
	ds_store_2addr_b64 v35, v[8:9], v[10:11] offset1:1
	ds_store_b64 v35, v[12:13] offset:16
	global_wb scope:SCOPE_SE
	s_wait_dscnt 0x0
	s_barrier_signal -1
	s_barrier_wait -1
	global_inv scope:SCOPE_SE
	s_and_saveexec_b32 s0, vcc_lo
	s_cbranch_execz .LBB0_3
; %bb.2:
	ds_load_2addr_b64 v[8:11], v32 offset1:3
	ds_load_2addr_b64 v[12:15], v32 offset0:6 offset1:9
	ds_load_2addr_b64 v[16:19], v32 offset0:12 offset1:15
.LBB0_3:
	s_wait_alu 0xfffe
	s_or_b32 exec_lo, exec_lo, s0
	v_add_nc_u32_e32 v0, -3, v31
	s_delay_alu instid0(VALU_DEP_1) | instskip(NEXT) | instid1(VALU_DEP_1)
	v_cndmask_b32_e32 v0, v0, v31, vcc_lo
	v_mul_i32_i24_e32 v1, 40, v0
	v_mul_hi_i32_i24_e32 v0, 40, v0
	s_delay_alu instid0(VALU_DEP_2) | instskip(SKIP_1) | instid1(VALU_DEP_2)
	v_add_co_u32 v27, s0, s10, v1
	s_wait_alu 0xf1ff
	v_add_co_ci_u32_e64 v28, s0, s11, v0, s0
	s_clause 0x2
	global_load_b128 v[4:7], v[27:28], off
	global_load_b128 v[0:3], v[27:28], off offset:16
	global_load_b64 v[27:28], v[27:28], off offset:32
	s_wait_loadcnt_dscnt 0x201
	v_dual_mul_f32 v36, v11, v5 :: v_dual_mul_f32 v37, v13, v7
	s_wait_loadcnt_dscnt 0x100
	v_dual_mul_f32 v42, v10, v5 :: v_dual_mul_f32 v41, v17, v3
	v_dual_mul_f32 v40, v14, v1 :: v_dual_mul_f32 v43, v16, v3
	s_wait_loadcnt 0x0
	v_dual_mul_f32 v38, v12, v7 :: v_dual_mul_f32 v45, v18, v28
	v_mul_f32_e32 v39, v15, v1
	v_fma_f32 v10, v10, v4, -v36
	v_fmac_f32_e32 v43, v17, v2
	s_delay_alu instid0(VALU_DEP_4)
	v_dual_fmac_f32 v38, v13, v6 :: v_dual_fmac_f32 v45, v19, v27
	v_fmac_f32_e32 v42, v11, v4
	v_fma_f32 v11, v12, v6, -v37
	v_mul_f32_e32 v44, v19, v28
	v_fma_f32 v12, v14, v0, -v39
	v_dual_fmac_f32 v40, v15, v0 :: v_dual_add_f32 v19, v38, v43
	v_fma_f32 v13, v16, v2, -v41
	v_add_f32_e32 v15, v8, v11
	v_fma_f32 v14, v18, v27, -v44
	v_dual_sub_f32 v37, v38, v43 :: v_dual_add_f32 v18, v9, v38
	s_delay_alu instid0(VALU_DEP_4) | instskip(SKIP_1) | instid1(VALU_DEP_4)
	v_add_f32_e32 v17, v11, v13
	v_dual_sub_f32 v11, v11, v13 :: v_dual_add_f32 v36, v10, v12
	v_dual_add_f32 v38, v12, v14 :: v_dual_add_f32 v41, v42, v40
	s_delay_alu instid0(VALU_DEP_4) | instskip(SKIP_2) | instid1(VALU_DEP_4)
	v_dual_sub_f32 v39, v40, v45 :: v_dual_add_f32 v18, v18, v43
	v_dual_add_f32 v40, v40, v45 :: v_dual_fmac_f32 v9, -0.5, v19
	v_fmac_f32_e32 v8, -0.5, v17
	v_fmac_f32_e32 v10, -0.5, v38
	v_sub_f32_e32 v12, v12, v14
	v_dual_add_f32 v16, v15, v13 :: v_dual_add_f32 v17, v36, v14
	s_delay_alu instid0(VALU_DEP_4)
	v_fmamk_f32 v19, v37, 0x3f5db3d7, v8
	v_dual_fmac_f32 v8, 0xbf5db3d7, v37 :: v_dual_fmamk_f32 v37, v11, 0xbf5db3d7, v9
	v_dual_fmac_f32 v9, 0x3f5db3d7, v11 :: v_dual_add_f32 v36, v41, v45
	v_fmamk_f32 v13, v39, 0x3f5db3d7, v10
	v_fmac_f32_e32 v10, 0xbf5db3d7, v39
	v_fmac_f32_e32 v42, -0.5, v40
	s_delay_alu instid0(VALU_DEP_2) | instskip(NEXT) | instid1(VALU_DEP_2)
	v_dual_mul_f32 v40, 0xbf5db3d7, v13 :: v_dual_mul_f32 v39, -0.5, v10
	v_fmamk_f32 v14, v12, 0xbf5db3d7, v42
	v_fmac_f32_e32 v42, 0x3f5db3d7, v12
	s_delay_alu instid0(VALU_DEP_1) | instskip(NEXT) | instid1(VALU_DEP_1)
	v_mul_f32_e32 v41, -0.5, v42
	v_fmac_f32_e32 v41, 0xbf5db3d7, v10
	s_delay_alu instid0(VALU_DEP_4) | instskip(NEXT) | instid1(VALU_DEP_2)
	v_fmac_f32_e32 v40, 0.5, v14
	v_dual_mul_f32 v38, 0x3f5db3d7, v14 :: v_dual_sub_f32 v15, v9, v41
	s_delay_alu instid0(VALU_DEP_2) | instskip(NEXT) | instid1(VALU_DEP_2)
	v_dual_sub_f32 v11, v37, v40 :: v_dual_sub_f32 v12, v16, v17
	v_dual_fmac_f32 v39, 0x3f5db3d7, v42 :: v_dual_fmac_f32 v38, 0.5, v13
	s_delay_alu instid0(VALU_DEP_1) | instskip(NEXT) | instid1(VALU_DEP_2)
	v_dual_sub_f32 v13, v18, v36 :: v_dual_sub_f32 v14, v8, v39
	v_sub_f32_e32 v10, v19, v38
	s_and_saveexec_b32 s0, vcc_lo
	s_cbranch_execz .LBB0_5
; %bb.4:
	v_dual_add_f32 v9, v9, v41 :: v_dual_add_f32 v18, v18, v36
	v_dual_add_f32 v37, v37, v40 :: v_dual_add_f32 v8, v8, v39
	;; [unrolled: 1-line block ×3, first 2 shown]
	v_lshl_add_u32 v19, v31, 3, v34
	ds_store_b64 v19, v[36:37] offset:24
	ds_store_2addr_b64 v32, v[17:18], v[8:9] offset1:6
	ds_store_b64 v19, v[12:13] offset:72
	ds_store_b64 v32, v[10:11] offset:96
	;; [unrolled: 1-line block ×3, first 2 shown]
.LBB0_5:
	s_wait_alu 0xfffe
	s_or_b32 exec_lo, exec_lo, s0
	global_wb scope:SCOPE_SE
	s_wait_dscnt 0x0
	s_barrier_signal -1
	s_barrier_wait -1
	global_inv scope:SCOPE_SE
	global_load_b64 v[8:9], v[29:30], off offset:144
	s_add_nc_u64 s[0:1], s[8:9], 0x90
	s_clause 0x1
	global_load_b64 v[36:37], v33, s[0:1] offset:48
	global_load_b64 v[38:39], v33, s[0:1] offset:96
	ds_load_b64 v[16:17], v32
	v_lshl_add_u32 v29, v31, 3, v34
	s_wait_loadcnt_dscnt 0x200
	v_mul_f32_e32 v18, v17, v9
	v_mul_f32_e32 v19, v16, v9
	s_delay_alu instid0(VALU_DEP_2) | instskip(NEXT) | instid1(VALU_DEP_2)
	v_fma_f32 v18, v16, v8, -v18
	v_fmac_f32_e32 v19, v17, v8
	ds_store_b64 v32, v[18:19]
	ds_load_2addr_b64 v[16:19], v29 offset0:6 offset1:12
	s_wait_loadcnt_dscnt 0x100
	v_mul_f32_e32 v8, v17, v37
	s_wait_loadcnt 0x0
	v_dual_mul_f32 v9, v16, v37 :: v_dual_mul_f32 v30, v19, v39
	v_mul_f32_e32 v34, v18, v39
	s_delay_alu instid0(VALU_DEP_3) | instskip(NEXT) | instid1(VALU_DEP_3)
	v_fma_f32 v8, v16, v36, -v8
	v_fmac_f32_e32 v9, v17, v36
	s_delay_alu instid0(VALU_DEP_4) | instskip(NEXT) | instid1(VALU_DEP_4)
	v_fma_f32 v33, v18, v38, -v30
	v_fmac_f32_e32 v34, v19, v38
	ds_store_2addr_b64 v29, v[8:9], v[33:34] offset0:6 offset1:12
	global_wb scope:SCOPE_SE
	s_wait_dscnt 0x0
	s_barrier_signal -1
	s_barrier_wait -1
	global_inv scope:SCOPE_SE
	ds_load_2addr_b64 v[16:19], v29 offset0:6 offset1:12
	ds_load_b64 v[8:9], v32
	global_wb scope:SCOPE_SE
	s_wait_dscnt 0x0
	s_barrier_signal -1
	s_barrier_wait -1
	global_inv scope:SCOPE_SE
	v_add_f32_e32 v30, v16, v18
	v_add_f32_e32 v33, v8, v16
	s_delay_alu instid0(VALU_DEP_2)
	v_fma_f32 v8, -0.5, v30, v8
	v_sub_f32_e32 v30, v16, v18
	v_add_f32_e32 v34, v17, v19
	v_sub_f32_e32 v36, v17, v19
	v_add_f32_e32 v17, v9, v17
	v_add_f32_e32 v16, v33, v18
	s_delay_alu instid0(VALU_DEP_4) | instskip(NEXT) | instid1(VALU_DEP_3)
	v_fmac_f32_e32 v9, -0.5, v34
	v_add_f32_e32 v17, v17, v19
	s_delay_alu instid0(VALU_DEP_2)
	v_fmamk_f32 v19, v30, 0x3f5db3d7, v9
	v_dual_fmac_f32 v9, 0xbf5db3d7, v30 :: v_dual_fmamk_f32 v18, v36, 0xbf5db3d7, v8
	v_fmac_f32_e32 v8, 0x3f5db3d7, v36
	ds_store_2addr_b64 v35, v[16:17], v[18:19] offset1:1
	ds_store_b64 v35, v[8:9] offset:16
	global_wb scope:SCOPE_SE
	s_wait_dscnt 0x0
	s_barrier_signal -1
	s_barrier_wait -1
	global_inv scope:SCOPE_SE
	s_and_saveexec_b32 s0, vcc_lo
	s_cbranch_execz .LBB0_7
; %bb.6:
	ds_load_2addr_b64 v[16:19], v32 offset1:3
	ds_load_2addr_b64 v[8:11], v29 offset0:6 offset1:12
	ds_load_2addr_b64 v[12:15], v32 offset0:9 offset1:15
.LBB0_7:
	s_wait_alu 0xfffe
	s_or_b32 exec_lo, exec_lo, s0
	s_and_saveexec_b32 s0, vcc_lo
	s_cbranch_execz .LBB0_9
; %bb.8:
	s_wait_dscnt 0x1
	v_mul_f32_e32 v30, v7, v8
	s_wait_dscnt 0x0
	v_dual_mul_f32 v33, v3, v10 :: v_dual_mul_f32 v34, v1, v12
	v_mul_f32_e32 v7, v7, v9
	s_delay_alu instid0(VALU_DEP_3) | instskip(NEXT) | instid1(VALU_DEP_3)
	v_fma_f32 v9, v6, v9, -v30
	v_fma_f32 v30, v2, v11, -v33
	v_mul_f32_e32 v33, v1, v13
	v_mul_f32_e32 v1, v28, v14
	;; [unrolled: 1-line block ×4, first 2 shown]
	v_fma_f32 v13, v0, v13, -v34
	v_dual_add_f32 v34, v9, v30 :: v_dual_fmac_f32 v33, v0, v12
	v_fma_f32 v1, v27, v15, -v1
	v_dual_mul_f32 v15, v5, v19 :: v_dual_fmac_f32 v28, v27, v14
	v_fmac_f32_e32 v7, v6, v8
	v_fmac_f32_e32 v11, v2, v10
	v_mul_f32_e32 v35, v5, v18
	v_fma_f32 v8, -0.5, v34, v17
	s_delay_alu instid0(VALU_DEP_3) | instskip(SKIP_1) | instid1(VALU_DEP_4)
	v_dual_add_f32 v3, v33, v28 :: v_dual_sub_f32 v10, v7, v11
	v_fmac_f32_e32 v15, v4, v18
	v_fma_f32 v0, v4, v19, -v35
	s_delay_alu instid0(VALU_DEP_3) | instskip(NEXT) | instid1(VALU_DEP_3)
	v_fmamk_f32 v18, v10, 0xbf5db3d7, v8
	v_fma_f32 v2, -0.5, v3, v15
	v_sub_f32_e32 v3, v13, v1
	v_dual_add_f32 v5, v13, v1 :: v_dual_fmac_f32 v8, 0x3f5db3d7, v10
	s_delay_alu instid0(VALU_DEP_2) | instskip(NEXT) | instid1(VALU_DEP_2)
	v_fmamk_f32 v12, v3, 0x3f5db3d7, v2
	v_fma_f32 v4, -0.5, v5, v0
	v_dual_sub_f32 v5, v33, v28 :: v_dual_add_f32 v0, v0, v13
	s_delay_alu instid0(VALU_DEP_1) | instskip(SKIP_1) | instid1(VALU_DEP_1)
	v_fmamk_f32 v6, v5, 0xbf5db3d7, v4
	v_fmac_f32_e32 v4, 0x3f5db3d7, v5
	v_dual_mul_f32 v14, -0.5, v6 :: v_dual_mul_f32 v19, 0.5, v4
	v_mul_f32_e32 v6, 0xbf5db3d7, v6
	v_dual_fmac_f32 v2, 0xbf5db3d7, v3 :: v_dual_add_f32 v3, v17, v9
	s_delay_alu instid0(VALU_DEP_3) | instskip(NEXT) | instid1(VALU_DEP_2)
	v_dual_fmac_f32 v14, 0x3f5db3d7, v12 :: v_dual_add_f32 v17, v0, v1
	v_dual_fmac_f32 v6, -0.5, v12 :: v_dual_fmac_f32 v19, 0x3f5db3d7, v2
	v_add_f32_e32 v12, v15, v33
	v_add_f32_e32 v5, v7, v11
	;; [unrolled: 1-line block ×3, first 2 shown]
	v_sub_f32_e32 v9, v9, v30
	v_mul_f32_e32 v15, 0xbf5db3d7, v4
	v_add_f32_e32 v12, v12, v28
	v_fma_f32 v13, -0.5, v5, v16
	v_add_f32_e32 v4, v7, v11
	v_add_f32_e32 v10, v3, v30
	v_fmac_f32_e32 v15, 0.5, v2
	v_sub_f32_e32 v1, v18, v14
	v_fmamk_f32 v27, v9, 0x3f5db3d7, v13
	v_fmac_f32_e32 v13, 0xbf5db3d7, v9
	v_sub_f32_e32 v5, v10, v17
	v_dual_add_f32 v11, v10, v17 :: v_dual_add_f32 v10, v4, v12
	v_add_f32_e32 v9, v8, v19
	v_sub_f32_e32 v4, v4, v12
	v_dual_sub_f32 v3, v8, v19 :: v_dual_sub_f32 v0, v27, v6
	v_dual_add_f32 v8, v13, v15 :: v_dual_add_f32 v7, v18, v14
	v_sub_f32_e32 v2, v13, v15
	v_add_f32_e32 v6, v27, v6
	ds_store_b64 v32, v[10:11]
	ds_store_b64 v29, v[8:9] offset:24
	ds_store_b64 v29, v[6:7] offset:48
	;; [unrolled: 1-line block ×5, first 2 shown]
.LBB0_9:
	s_wait_alu 0xfffe
	s_or_b32 exec_lo, exec_lo, s0
	global_wb scope:SCOPE_SE
	s_wait_dscnt 0x0
	s_barrier_signal -1
	s_barrier_wait -1
	global_inv scope:SCOPE_SE
	ds_load_b64 v[4:5], v32
	ds_load_2addr_b64 v[0:3], v29 offset0:6 offset1:12
	v_mad_co_u64_u32 v[12:13], null, s6, v20, 0
	v_mad_co_u64_u32 v[14:15], null, s4, v31, 0
	s_mov_b32 s0, 0x1c71c71c
	s_mov_b32 s1, 0x3fac71c7
	s_delay_alu instid0(VALU_DEP_1) | instskip(NEXT) | instid1(VALU_DEP_1)
	v_mad_co_u64_u32 v[16:17], null, s7, v20, v[13:14]
	v_mad_co_u64_u32 v[17:18], null, s5, v31, v[15:16]
	s_wait_dscnt 0x0
	v_dual_mul_f32 v6, v22, v5 :: v_dual_mul_f32 v9, v24, v0
	v_dual_mul_f32 v7, v22, v4 :: v_dual_mul_f32 v8, v24, v1
	v_dual_mul_f32 v10, v26, v3 :: v_dual_mov_b32 v13, v16
	s_delay_alu instid0(VALU_DEP_3) | instskip(NEXT) | instid1(VALU_DEP_3)
	v_dual_mul_f32 v11, v26, v2 :: v_dual_fmac_f32 v6, v21, v4
	v_fma_f32 v4, v21, v5, -v7
	s_delay_alu instid0(VALU_DEP_4)
	v_dual_fmac_f32 v8, v23, v0 :: v_dual_mov_b32 v15, v17
	v_fma_f32 v7, v23, v1, -v9
	v_fmac_f32_e32 v10, v25, v2
	v_fma_f32 v11, v25, v3, -v11
	v_cvt_f64_f32_e32 v[0:1], v6
	v_cvt_f64_f32_e32 v[2:3], v4
	;; [unrolled: 1-line block ×6, first 2 shown]
	v_lshlrev_b64_e32 v[12:13], 3, v[12:13]
	v_lshlrev_b64_e32 v[14:15], 3, v[14:15]
	s_wait_alu 0xfffe
	v_mul_f64_e32 v[0:1], s[0:1], v[0:1]
	v_mul_f64_e32 v[2:3], s[0:1], v[2:3]
	v_mul_f64_e32 v[4:5], s[0:1], v[4:5]
	v_mul_f64_e32 v[6:7], s[0:1], v[6:7]
	v_mul_f64_e32 v[8:9], s[0:1], v[8:9]
	v_mul_f64_e32 v[10:11], s[0:1], v[10:11]
	s_mul_i32 s0, s5, 48
	v_cvt_f32_f64_e32 v0, v[0:1]
	v_cvt_f32_f64_e32 v1, v[2:3]
	;; [unrolled: 1-line block ×6, first 2 shown]
	v_add_co_u32 v6, vcc_lo, s2, v12
	s_wait_alu 0xfffd
	v_add_co_ci_u32_e32 v7, vcc_lo, s3, v13, vcc_lo
	s_delay_alu instid0(VALU_DEP_2) | instskip(SKIP_1) | instid1(VALU_DEP_2)
	v_add_co_u32 v6, vcc_lo, v6, v14
	s_wait_alu 0xfffd
	v_add_co_ci_u32_e32 v7, vcc_lo, v7, v15, vcc_lo
	s_delay_alu instid0(VALU_DEP_1) | instskip(SKIP_1) | instid1(VALU_DEP_1)
	v_mad_co_u64_u32 v[8:9], null, s4, 48, v[6:7]
	s_wait_alu 0xfffe
	v_add_nc_u32_e32 v9, s0, v9
	s_delay_alu instid0(VALU_DEP_1) | instskip(NEXT) | instid1(VALU_DEP_1)
	v_mad_co_u64_u32 v[10:11], null, s4, 48, v[8:9]
	v_add_nc_u32_e32 v11, s0, v11
	s_clause 0x2
	global_store_b64 v[6:7], v[0:1], off
	global_store_b64 v[8:9], v[2:3], off
	;; [unrolled: 1-line block ×3, first 2 shown]
.LBB0_10:
	s_nop 0
	s_sendmsg sendmsg(MSG_DEALLOC_VGPRS)
	s_endpgm
	.section	.rodata,"a",@progbits
	.p2align	6, 0x0
	.amdhsa_kernel bluestein_single_back_len18_dim1_sp_op_CI_CI
		.amdhsa_group_segment_fixed_size 1440
		.amdhsa_private_segment_fixed_size 0
		.amdhsa_kernarg_size 104
		.amdhsa_user_sgpr_count 2
		.amdhsa_user_sgpr_dispatch_ptr 0
		.amdhsa_user_sgpr_queue_ptr 0
		.amdhsa_user_sgpr_kernarg_segment_ptr 1
		.amdhsa_user_sgpr_dispatch_id 0
		.amdhsa_user_sgpr_private_segment_size 0
		.amdhsa_wavefront_size32 1
		.amdhsa_uses_dynamic_stack 0
		.amdhsa_enable_private_segment 0
		.amdhsa_system_sgpr_workgroup_id_x 1
		.amdhsa_system_sgpr_workgroup_id_y 0
		.amdhsa_system_sgpr_workgroup_id_z 0
		.amdhsa_system_sgpr_workgroup_info 0
		.amdhsa_system_vgpr_workitem_id 0
		.amdhsa_next_free_vgpr 46
		.amdhsa_next_free_sgpr 16
		.amdhsa_reserve_vcc 1
		.amdhsa_float_round_mode_32 0
		.amdhsa_float_round_mode_16_64 0
		.amdhsa_float_denorm_mode_32 3
		.amdhsa_float_denorm_mode_16_64 3
		.amdhsa_fp16_overflow 0
		.amdhsa_workgroup_processor_mode 1
		.amdhsa_memory_ordered 1
		.amdhsa_forward_progress 0
		.amdhsa_round_robin_scheduling 0
		.amdhsa_exception_fp_ieee_invalid_op 0
		.amdhsa_exception_fp_denorm_src 0
		.amdhsa_exception_fp_ieee_div_zero 0
		.amdhsa_exception_fp_ieee_overflow 0
		.amdhsa_exception_fp_ieee_underflow 0
		.amdhsa_exception_fp_ieee_inexact 0
		.amdhsa_exception_int_div_zero 0
	.end_amdhsa_kernel
	.text
.Lfunc_end0:
	.size	bluestein_single_back_len18_dim1_sp_op_CI_CI, .Lfunc_end0-bluestein_single_back_len18_dim1_sp_op_CI_CI
                                        ; -- End function
	.section	.AMDGPU.csdata,"",@progbits
; Kernel info:
; codeLenInByte = 2680
; NumSgprs: 18
; NumVgprs: 46
; ScratchSize: 0
; MemoryBound: 0
; FloatMode: 240
; IeeeMode: 1
; LDSByteSize: 1440 bytes/workgroup (compile time only)
; SGPRBlocks: 2
; VGPRBlocks: 5
; NumSGPRsForWavesPerEU: 18
; NumVGPRsForWavesPerEU: 46
; Occupancy: 16
; WaveLimiterHint : 1
; COMPUTE_PGM_RSRC2:SCRATCH_EN: 0
; COMPUTE_PGM_RSRC2:USER_SGPR: 2
; COMPUTE_PGM_RSRC2:TRAP_HANDLER: 0
; COMPUTE_PGM_RSRC2:TGID_X_EN: 1
; COMPUTE_PGM_RSRC2:TGID_Y_EN: 0
; COMPUTE_PGM_RSRC2:TGID_Z_EN: 0
; COMPUTE_PGM_RSRC2:TIDIG_COMP_CNT: 0
	.text
	.p2alignl 7, 3214868480
	.fill 96, 4, 3214868480
	.type	__hip_cuid_9828ec6540612c66,@object ; @__hip_cuid_9828ec6540612c66
	.section	.bss,"aw",@nobits
	.globl	__hip_cuid_9828ec6540612c66
__hip_cuid_9828ec6540612c66:
	.byte	0                               ; 0x0
	.size	__hip_cuid_9828ec6540612c66, 1

	.ident	"AMD clang version 19.0.0git (https://github.com/RadeonOpenCompute/llvm-project roc-6.4.0 25133 c7fe45cf4b819c5991fe208aaa96edf142730f1d)"
	.section	".note.GNU-stack","",@progbits
	.addrsig
	.addrsig_sym __hip_cuid_9828ec6540612c66
	.amdgpu_metadata
---
amdhsa.kernels:
  - .args:
      - .actual_access:  read_only
        .address_space:  global
        .offset:         0
        .size:           8
        .value_kind:     global_buffer
      - .actual_access:  read_only
        .address_space:  global
        .offset:         8
        .size:           8
        .value_kind:     global_buffer
      - .actual_access:  read_only
        .address_space:  global
        .offset:         16
        .size:           8
        .value_kind:     global_buffer
      - .actual_access:  read_only
        .address_space:  global
        .offset:         24
        .size:           8
        .value_kind:     global_buffer
      - .actual_access:  read_only
        .address_space:  global
        .offset:         32
        .size:           8
        .value_kind:     global_buffer
      - .offset:         40
        .size:           8
        .value_kind:     by_value
      - .address_space:  global
        .offset:         48
        .size:           8
        .value_kind:     global_buffer
      - .address_space:  global
        .offset:         56
        .size:           8
        .value_kind:     global_buffer
      - .address_space:  global
        .offset:         64
        .size:           8
        .value_kind:     global_buffer
      - .address_space:  global
        .offset:         72
        .size:           8
        .value_kind:     global_buffer
      - .offset:         80
        .size:           4
        .value_kind:     by_value
      - .address_space:  global
        .offset:         88
        .size:           8
        .value_kind:     global_buffer
      - .address_space:  global
        .offset:         96
        .size:           8
        .value_kind:     global_buffer
    .group_segment_fixed_size: 1440
    .kernarg_segment_align: 8
    .kernarg_segment_size: 104
    .language:       OpenCL C
    .language_version:
      - 2
      - 0
    .max_flat_workgroup_size: 60
    .name:           bluestein_single_back_len18_dim1_sp_op_CI_CI
    .private_segment_fixed_size: 0
    .sgpr_count:     18
    .sgpr_spill_count: 0
    .symbol:         bluestein_single_back_len18_dim1_sp_op_CI_CI.kd
    .uniform_work_group_size: 1
    .uses_dynamic_stack: false
    .vgpr_count:     46
    .vgpr_spill_count: 0
    .wavefront_size: 32
    .workgroup_processor_mode: 1
amdhsa.target:   amdgcn-amd-amdhsa--gfx1201
amdhsa.version:
  - 1
  - 2
...

	.end_amdgpu_metadata
